;; amdgpu-corpus repo=ROCm/rocFFT kind=compiled arch=gfx1030 opt=O3
	.text
	.amdgcn_target "amdgcn-amd-amdhsa--gfx1030"
	.amdhsa_code_object_version 6
	.protected	fft_rtc_fwd_len220_factors_10_2_11_wgs_110_tpt_22_dp_op_CI_CI_unitstride_sbrr_C2R_dirReg ; -- Begin function fft_rtc_fwd_len220_factors_10_2_11_wgs_110_tpt_22_dp_op_CI_CI_unitstride_sbrr_C2R_dirReg
	.globl	fft_rtc_fwd_len220_factors_10_2_11_wgs_110_tpt_22_dp_op_CI_CI_unitstride_sbrr_C2R_dirReg
	.p2align	8
	.type	fft_rtc_fwd_len220_factors_10_2_11_wgs_110_tpt_22_dp_op_CI_CI_unitstride_sbrr_C2R_dirReg,@function
fft_rtc_fwd_len220_factors_10_2_11_wgs_110_tpt_22_dp_op_CI_CI_unitstride_sbrr_C2R_dirReg: ; @fft_rtc_fwd_len220_factors_10_2_11_wgs_110_tpt_22_dp_op_CI_CI_unitstride_sbrr_C2R_dirReg
; %bb.0:
	s_load_dwordx4 s[12:15], s[4:5], 0x0
	v_mul_u32_u24_e32 v1, 0xba3, v0
	s_clause 0x1
	s_load_dwordx4 s[8:11], s[4:5], 0x58
	s_load_dwordx4 s[16:19], s[4:5], 0x18
	v_mov_b32_e32 v5, 0
	v_lshrrev_b32_e32 v3, 16, v1
	v_mov_b32_e32 v1, 0
	v_mov_b32_e32 v2, 0
	v_mad_u64_u32 v[3:4], null, s6, 5, v[3:4]
	v_mov_b32_e32 v4, v5
	v_mov_b32_e32 v45, v2
	;; [unrolled: 1-line block ×5, first 2 shown]
	s_waitcnt lgkmcnt(0)
	v_cmp_lt_u64_e64 s0, s[14:15], 2
	s_and_b32 vcc_lo, exec_lo, s0
	s_cbranch_vccnz .LBB0_8
; %bb.1:
	s_load_dwordx2 s[0:1], s[4:5], 0x10
	v_mov_b32_e32 v1, 0
	v_mov_b32_e32 v2, 0
	s_add_u32 s2, s18, 8
	v_mov_b32_e32 v8, v4
	s_addc_u32 s3, s19, 0
	v_mov_b32_e32 v7, v3
	v_mov_b32_e32 v45, v2
	s_add_u32 s6, s16, 8
	v_mov_b32_e32 v44, v1
	s_addc_u32 s7, s17, 0
	s_mov_b64 s[22:23], 1
	s_waitcnt lgkmcnt(0)
	s_add_u32 s20, s0, 8
	s_addc_u32 s21, s1, 0
.LBB0_2:                                ; =>This Inner Loop Header: Depth=1
	s_load_dwordx2 s[24:25], s[20:21], 0x0
                                        ; implicit-def: $vgpr46_vgpr47
	s_mov_b32 s0, exec_lo
	s_waitcnt lgkmcnt(0)
	v_or_b32_e32 v6, s25, v8
	v_cmpx_ne_u64_e32 0, v[5:6]
	s_xor_b32 s1, exec_lo, s0
	s_cbranch_execz .LBB0_4
; %bb.3:                                ;   in Loop: Header=BB0_2 Depth=1
	v_cvt_f32_u32_e32 v4, s24
	v_cvt_f32_u32_e32 v6, s25
	s_sub_u32 s0, 0, s24
	s_subb_u32 s26, 0, s25
	v_fmac_f32_e32 v4, 0x4f800000, v6
	v_rcp_f32_e32 v4, v4
	v_mul_f32_e32 v4, 0x5f7ffffc, v4
	v_mul_f32_e32 v6, 0x2f800000, v4
	v_trunc_f32_e32 v6, v6
	v_fmac_f32_e32 v4, 0xcf800000, v6
	v_cvt_u32_f32_e32 v6, v6
	v_cvt_u32_f32_e32 v4, v4
	v_mul_lo_u32 v9, s0, v6
	v_mul_hi_u32 v10, s0, v4
	v_mul_lo_u32 v11, s26, v4
	v_add_nc_u32_e32 v9, v10, v9
	v_mul_lo_u32 v10, s0, v4
	v_add_nc_u32_e32 v9, v9, v11
	v_mul_hi_u32 v11, v4, v10
	v_mul_lo_u32 v12, v4, v9
	v_mul_hi_u32 v13, v4, v9
	v_mul_hi_u32 v14, v6, v10
	v_mul_lo_u32 v10, v6, v10
	v_mul_hi_u32 v15, v6, v9
	v_mul_lo_u32 v9, v6, v9
	v_add_co_u32 v11, vcc_lo, v11, v12
	v_add_co_ci_u32_e32 v12, vcc_lo, 0, v13, vcc_lo
	v_add_co_u32 v10, vcc_lo, v11, v10
	v_add_co_ci_u32_e32 v10, vcc_lo, v12, v14, vcc_lo
	v_add_co_ci_u32_e32 v11, vcc_lo, 0, v15, vcc_lo
	v_add_co_u32 v9, vcc_lo, v10, v9
	v_add_co_ci_u32_e32 v10, vcc_lo, 0, v11, vcc_lo
	v_add_co_u32 v4, vcc_lo, v4, v9
	v_add_co_ci_u32_e32 v6, vcc_lo, v6, v10, vcc_lo
	v_mul_hi_u32 v9, s0, v4
	v_mul_lo_u32 v11, s26, v4
	v_mul_lo_u32 v10, s0, v6
	v_add_nc_u32_e32 v9, v9, v10
	v_mul_lo_u32 v10, s0, v4
	v_add_nc_u32_e32 v9, v9, v11
	v_mul_hi_u32 v11, v4, v10
	v_mul_lo_u32 v12, v4, v9
	v_mul_hi_u32 v13, v4, v9
	v_mul_hi_u32 v14, v6, v10
	v_mul_lo_u32 v10, v6, v10
	v_mul_hi_u32 v15, v6, v9
	v_mul_lo_u32 v9, v6, v9
	v_add_co_u32 v11, vcc_lo, v11, v12
	v_add_co_ci_u32_e32 v12, vcc_lo, 0, v13, vcc_lo
	v_add_co_u32 v10, vcc_lo, v11, v10
	v_add_co_ci_u32_e32 v10, vcc_lo, v12, v14, vcc_lo
	v_add_co_ci_u32_e32 v11, vcc_lo, 0, v15, vcc_lo
	v_add_co_u32 v9, vcc_lo, v10, v9
	v_add_co_ci_u32_e32 v10, vcc_lo, 0, v11, vcc_lo
	v_add_co_u32 v4, vcc_lo, v4, v9
	v_add_co_ci_u32_e32 v6, vcc_lo, v6, v10, vcc_lo
	v_mul_hi_u32 v15, v7, v4
	v_mad_u64_u32 v[11:12], null, v8, v4, 0
	v_mad_u64_u32 v[9:10], null, v7, v6, 0
	;; [unrolled: 1-line block ×3, first 2 shown]
	v_add_co_u32 v4, vcc_lo, v15, v9
	v_add_co_ci_u32_e32 v6, vcc_lo, 0, v10, vcc_lo
	v_add_co_u32 v4, vcc_lo, v4, v11
	v_add_co_ci_u32_e32 v4, vcc_lo, v6, v12, vcc_lo
	v_add_co_ci_u32_e32 v6, vcc_lo, 0, v14, vcc_lo
	v_add_co_u32 v4, vcc_lo, v4, v13
	v_add_co_ci_u32_e32 v6, vcc_lo, 0, v6, vcc_lo
	v_mul_lo_u32 v11, s25, v4
	v_mad_u64_u32 v[9:10], null, s24, v4, 0
	v_mul_lo_u32 v12, s24, v6
	v_sub_co_u32 v9, vcc_lo, v7, v9
	v_add3_u32 v10, v10, v12, v11
	v_sub_nc_u32_e32 v11, v8, v10
	v_subrev_co_ci_u32_e64 v11, s0, s25, v11, vcc_lo
	v_add_co_u32 v12, s0, v4, 2
	v_add_co_ci_u32_e64 v13, s0, 0, v6, s0
	v_sub_co_u32 v14, s0, v9, s24
	v_sub_co_ci_u32_e32 v10, vcc_lo, v8, v10, vcc_lo
	v_subrev_co_ci_u32_e64 v11, s0, 0, v11, s0
	v_cmp_le_u32_e32 vcc_lo, s24, v14
	v_cmp_eq_u32_e64 s0, s25, v10
	v_cndmask_b32_e64 v14, 0, -1, vcc_lo
	v_cmp_le_u32_e32 vcc_lo, s25, v11
	v_cndmask_b32_e64 v15, 0, -1, vcc_lo
	v_cmp_le_u32_e32 vcc_lo, s24, v9
	;; [unrolled: 2-line block ×3, first 2 shown]
	v_cndmask_b32_e64 v16, 0, -1, vcc_lo
	v_cmp_eq_u32_e32 vcc_lo, s25, v11
	v_cndmask_b32_e64 v9, v16, v9, s0
	v_cndmask_b32_e32 v11, v15, v14, vcc_lo
	v_add_co_u32 v14, vcc_lo, v4, 1
	v_add_co_ci_u32_e32 v15, vcc_lo, 0, v6, vcc_lo
	v_cmp_ne_u32_e32 vcc_lo, 0, v11
	v_cndmask_b32_e32 v10, v15, v13, vcc_lo
	v_cndmask_b32_e32 v11, v14, v12, vcc_lo
	v_cmp_ne_u32_e32 vcc_lo, 0, v9
	v_cndmask_b32_e32 v47, v6, v10, vcc_lo
	v_cndmask_b32_e32 v46, v4, v11, vcc_lo
.LBB0_4:                                ;   in Loop: Header=BB0_2 Depth=1
	s_andn2_saveexec_b32 s0, s1
	s_cbranch_execz .LBB0_6
; %bb.5:                                ;   in Loop: Header=BB0_2 Depth=1
	v_cvt_f32_u32_e32 v4, s24
	s_sub_i32 s1, 0, s24
	v_mov_b32_e32 v47, v5
	v_rcp_iflag_f32_e32 v4, v4
	v_mul_f32_e32 v4, 0x4f7ffffe, v4
	v_cvt_u32_f32_e32 v4, v4
	v_mul_lo_u32 v6, s1, v4
	v_mul_hi_u32 v6, v4, v6
	v_add_nc_u32_e32 v4, v4, v6
	v_mul_hi_u32 v4, v7, v4
	v_mul_lo_u32 v6, v4, s24
	v_add_nc_u32_e32 v9, 1, v4
	v_sub_nc_u32_e32 v6, v7, v6
	v_subrev_nc_u32_e32 v10, s24, v6
	v_cmp_le_u32_e32 vcc_lo, s24, v6
	v_cndmask_b32_e32 v6, v6, v10, vcc_lo
	v_cndmask_b32_e32 v4, v4, v9, vcc_lo
	v_cmp_le_u32_e32 vcc_lo, s24, v6
	v_add_nc_u32_e32 v9, 1, v4
	v_cndmask_b32_e32 v46, v4, v9, vcc_lo
.LBB0_6:                                ;   in Loop: Header=BB0_2 Depth=1
	s_or_b32 exec_lo, exec_lo, s0
	v_mul_lo_u32 v4, v47, s24
	v_mul_lo_u32 v6, v46, s25
	s_load_dwordx2 s[0:1], s[6:7], 0x0
	v_mad_u64_u32 v[9:10], null, v46, s24, 0
	s_load_dwordx2 s[24:25], s[2:3], 0x0
	s_add_u32 s22, s22, 1
	s_addc_u32 s23, s23, 0
	s_add_u32 s2, s2, 8
	s_addc_u32 s3, s3, 0
	s_add_u32 s6, s6, 8
	v_add3_u32 v4, v10, v6, v4
	v_sub_co_u32 v6, vcc_lo, v7, v9
	s_addc_u32 s7, s7, 0
	s_add_u32 s20, s20, 8
	v_sub_co_ci_u32_e32 v4, vcc_lo, v8, v4, vcc_lo
	s_addc_u32 s21, s21, 0
	s_waitcnt lgkmcnt(0)
	v_mul_lo_u32 v7, s0, v4
	v_mul_lo_u32 v8, s1, v6
	v_mad_u64_u32 v[1:2], null, s0, v6, v[1:2]
	v_mul_lo_u32 v4, s24, v4
	v_mul_lo_u32 v9, s25, v6
	v_mad_u64_u32 v[44:45], null, s24, v6, v[44:45]
	v_cmp_ge_u64_e64 s0, s[22:23], s[14:15]
	v_add3_u32 v2, v8, v2, v7
	v_add3_u32 v45, v9, v45, v4
	s_and_b32 vcc_lo, exec_lo, s0
	s_cbranch_vccnz .LBB0_8
; %bb.7:                                ;   in Loop: Header=BB0_2 Depth=1
	v_mov_b32_e32 v7, v46
	v_mov_b32_e32 v8, v47
	s_branch .LBB0_2
.LBB0_8:
	s_load_dwordx2 s[0:1], s[4:5], 0x28
	v_mul_hi_u32 v4, 0xcccccccd, v3
	s_lshl_b64 s[4:5], s[14:15], 3
                                        ; implicit-def: $vgpr48
	s_add_u32 s2, s18, s4
	s_addc_u32 s3, s19, s5
	v_lshrrev_b32_e32 v4, 2, v4
	v_lshl_add_u32 v5, v4, 2, v4
	v_mul_hi_u32 v4, 0xba2e8bb, v0
	v_sub_nc_u32_e32 v3, v3, v5
	s_waitcnt lgkmcnt(0)
	v_cmp_gt_u64_e32 vcc_lo, s[0:1], v[46:47]
	v_cmp_le_u64_e64 s0, s[0:1], v[46:47]
	s_and_saveexec_b32 s1, s0
	s_xor_b32 s0, exec_lo, s1
; %bb.9:
	v_mul_u32_u24_e32 v1, 22, v4
                                        ; implicit-def: $vgpr4
	v_sub_nc_u32_e32 v48, v0, v1
                                        ; implicit-def: $vgpr0
                                        ; implicit-def: $vgpr1_vgpr2
; %bb.10:
	s_or_saveexec_b32 s1, s0
	s_load_dwordx2 s[2:3], s[2:3], 0x0
	v_mul_u32_u24_e32 v3, 0xdd, v3
	v_lshlrev_b32_e32 v40, 4, v3
	s_xor_b32 exec_lo, exec_lo, s1
	s_cbranch_execz .LBB0_14
; %bb.11:
	s_add_u32 s4, s16, s4
	s_addc_u32 s5, s17, s5
	v_lshlrev_b64 v[1:2], 4, v[1:2]
	s_load_dwordx2 s[4:5], s[4:5], 0x0
	s_waitcnt lgkmcnt(0)
	v_mul_lo_u32 v7, s5, v46
	v_mul_lo_u32 v8, s4, v47
	v_mad_u64_u32 v[5:6], null, s4, v46, 0
	s_mov_b32 s4, exec_lo
	v_add3_u32 v6, v6, v8, v7
	v_mul_u32_u24_e32 v7, 22, v4
	v_lshlrev_b64 v[4:5], 4, v[5:6]
	v_sub_nc_u32_e32 v48, v0, v7
	v_lshlrev_b32_e32 v43, 4, v48
	v_add_co_u32 v0, s0, s8, v4
	v_add_co_ci_u32_e64 v4, s0, s9, v5, s0
	v_add_co_u32 v0, s0, v0, v1
	v_add_co_ci_u32_e64 v1, s0, v4, v2, s0
	v_add3_u32 v2, 0, v40, v43
	v_add_co_u32 v24, s0, v0, v43
	v_add_co_ci_u32_e64 v25, s0, 0, v1, s0
	s_clause 0x1
	global_load_dwordx4 v[4:7], v[24:25], off
	global_load_dwordx4 v[8:11], v[24:25], off offset:352
	v_add_co_u32 v41, s0, 0x800, v24
	v_add_co_ci_u32_e64 v42, s0, 0, v25, s0
	s_clause 0x7
	global_load_dwordx4 v[12:15], v[24:25], off offset:704
	global_load_dwordx4 v[16:19], v[24:25], off offset:1056
	;; [unrolled: 1-line block ×8, first 2 shown]
	s_waitcnt vmcnt(9)
	ds_write_b128 v2, v[4:7]
	s_waitcnt vmcnt(8)
	ds_write_b128 v2, v[8:11] offset:352
	s_waitcnt vmcnt(7)
	ds_write_b128 v2, v[12:15] offset:704
	;; [unrolled: 2-line block ×9, first 2 shown]
	v_cmpx_eq_u32_e32 21, v48
	s_cbranch_execz .LBB0_13
; %bb.12:
	v_add_co_u32 v0, s0, 0x800, v0
	v_add_co_ci_u32_e64 v1, s0, 0, v1, s0
	v_mov_b32_e32 v48, 21
	global_load_dwordx4 v[4:7], v[0:1], off offset:1472
	s_waitcnt vmcnt(0)
	ds_write_b128 v2, v[4:7] offset:3184
.LBB0_13:
	s_or_b32 exec_lo, exec_lo, s4
.LBB0_14:
	s_or_b32 exec_lo, exec_lo, s1
	v_lshl_add_u32 v51, v3, 4, 0
	v_lshlrev_b32_e32 v10, 4, v48
	s_waitcnt lgkmcnt(0)
	s_barrier
	buffer_gl0_inv
	s_add_u32 s1, s12, 0xd20
	v_add_nc_u32_e32 v52, v51, v10
	v_sub_nc_u32_e32 v11, v51, v10
	s_addc_u32 s4, s13, 0
	s_mov_b32 s5, exec_lo
	ds_read_b64 v[6:7], v52
	ds_read_b64 v[8:9], v11 offset:3520
                                        ; implicit-def: $vgpr4_vgpr5
	s_waitcnt lgkmcnt(0)
	v_add_f64 v[0:1], v[6:7], v[8:9]
	v_add_f64 v[2:3], v[6:7], -v[8:9]
	v_cmpx_ne_u32_e32 0, v48
	s_xor_b32 s5, exec_lo, s5
	s_cbranch_execz .LBB0_16
; %bb.15:
	v_mov_b32_e32 v49, 0
	v_add_f64 v[14:15], v[6:7], v[8:9]
	v_add_f64 v[16:17], v[6:7], -v[8:9]
	v_lshlrev_b64 v[0:1], 4, v[48:49]
	v_add_co_u32 v0, s0, s1, v0
	v_add_co_ci_u32_e64 v1, s0, s4, v1, s0
	global_load_dwordx4 v[2:5], v[0:1], off
	ds_read_b64 v[0:1], v11 offset:3528
	ds_read_b64 v[12:13], v52 offset:8
	s_waitcnt lgkmcnt(0)
	v_add_f64 v[6:7], v[0:1], v[12:13]
	v_add_f64 v[0:1], v[12:13], -v[0:1]
	s_waitcnt vmcnt(0)
	v_fma_f64 v[8:9], v[16:17], v[4:5], v[14:15]
	v_fma_f64 v[12:13], -v[16:17], v[4:5], v[14:15]
	v_fma_f64 v[14:15], v[6:7], v[4:5], -v[0:1]
	v_fma_f64 v[4:5], v[6:7], v[4:5], v[0:1]
	v_fma_f64 v[0:1], -v[6:7], v[2:3], v[8:9]
	v_fma_f64 v[6:7], v[6:7], v[2:3], v[12:13]
	v_fma_f64 v[8:9], v[16:17], v[2:3], v[14:15]
	;; [unrolled: 1-line block ×3, first 2 shown]
	v_mov_b32_e32 v4, v48
	v_mov_b32_e32 v5, v49
	ds_write_b128 v11, v[6:9] offset:3520
.LBB0_16:
	s_andn2_saveexec_b32 s0, s5
	s_cbranch_execz .LBB0_18
; %bb.17:
	ds_read_b128 v[4:7], v51 offset:1760
	s_waitcnt lgkmcnt(0)
	v_add_f64 v[12:13], v[4:5], v[4:5]
	v_mul_f64 v[14:15], v[6:7], -2.0
	v_mov_b32_e32 v4, 0
	v_mov_b32_e32 v5, 0
	ds_write_b128 v51, v[12:15] offset:1760
.LBB0_18:
	s_or_b32 exec_lo, exec_lo, s0
	v_lshlrev_b64 v[4:5], 4, v[4:5]
	v_add3_u32 v53, 0, v10, v40
	v_add_nc_u16 v118, v48, 22
	v_add_nc_u16 v119, v48, 44
	;; [unrolled: 1-line block ×4, first 2 shown]
	v_add_co_u32 v8, s0, s1, v4
	v_add_co_ci_u32_e64 v9, s0, s4, v5, s0
	v_and_b32_e32 v58, 0xff, v118
	v_and_b32_e32 v59, 0xff, v119
	;; [unrolled: 1-line block ×3, first 2 shown]
	s_clause 0x2
	global_load_dwordx4 v[4:7], v[8:9], off offset:352
	global_load_dwordx4 v[12:15], v[8:9], off offset:704
	;; [unrolled: 1-line block ×3, first 2 shown]
	ds_write_b128 v52, v[0:3]
	ds_read_b128 v[0:3], v52 offset:352
	ds_read_b128 v[20:23], v11 offset:3168
	global_load_dwordx4 v[24:27], v[8:9], off offset:1408
	v_and_b32_e32 v61, 0xff, v122
	s_mov_b32 s4, 0x134454ff
	s_mov_b32 s5, 0x3fee6f0e
	;; [unrolled: 1-line block ×4, first 2 shown]
	v_mul_lo_u16 v124, 0xcd, v58
	v_mul_lo_u16 v125, 0xcd, v59
	;; [unrolled: 1-line block ×4, first 2 shown]
	s_mov_b32 s8, 0x4755a5e
	s_mov_b32 s9, 0x3fe2cf23
	;; [unrolled: 1-line block ×8, first 2 shown]
	v_and_b32_e32 v43, 0xff, v48
	s_waitcnt lgkmcnt(0)
	v_add_f64 v[8:9], v[0:1], v[20:21]
	v_add_f64 v[28:29], v[22:23], v[2:3]
	v_add_f64 v[20:21], v[0:1], -v[20:21]
	v_add_f64 v[0:1], v[2:3], -v[22:23]
	v_mul_lo_u16 v43, 0xcd, v43
	v_mov_b32_e32 v120, 4
	v_mad_u32_u24 v123, 0x90, v48, v53
	v_lshrrev_b16 v43, 11, v43
	s_waitcnt vmcnt(3)
	v_fma_f64 v[2:3], v[20:21], v[6:7], v[8:9]
	v_fma_f64 v[22:23], v[28:29], v[6:7], v[0:1]
	v_fma_f64 v[8:9], -v[20:21], v[6:7], v[8:9]
	v_fma_f64 v[30:31], v[28:29], v[6:7], -v[0:1]
	v_fma_f64 v[0:1], -v[28:29], v[4:5], v[2:3]
	v_fma_f64 v[2:3], v[20:21], v[4:5], v[22:23]
	v_fma_f64 v[6:7], v[28:29], v[4:5], v[8:9]
	v_fma_f64 v[8:9], v[20:21], v[4:5], v[30:31]
	ds_write_b128 v52, v[0:3] offset:352
	ds_write_b128 v11, v[6:9] offset:3168
	ds_read_b128 v[0:3], v52 offset:704
	ds_read_b128 v[4:7], v11 offset:2816
	s_waitcnt lgkmcnt(0)
	v_add_f64 v[8:9], v[0:1], v[4:5]
	v_add_f64 v[20:21], v[6:7], v[2:3]
	v_add_f64 v[22:23], v[0:1], -v[4:5]
	v_add_f64 v[0:1], v[2:3], -v[6:7]
	s_waitcnt vmcnt(2)
	v_fma_f64 v[2:3], v[22:23], v[14:15], v[8:9]
	v_fma_f64 v[4:5], v[20:21], v[14:15], v[0:1]
	v_fma_f64 v[6:7], -v[22:23], v[14:15], v[8:9]
	v_fma_f64 v[8:9], v[20:21], v[14:15], -v[0:1]
	v_fma_f64 v[0:1], -v[20:21], v[12:13], v[2:3]
	v_fma_f64 v[2:3], v[22:23], v[12:13], v[4:5]
	v_fma_f64 v[4:5], v[20:21], v[12:13], v[6:7]
	v_fma_f64 v[6:7], v[22:23], v[12:13], v[8:9]
	ds_write_b128 v52, v[0:3] offset:704
	ds_write_b128 v11, v[4:7] offset:2816
	ds_read_b128 v[0:3], v52 offset:1056
	ds_read_b128 v[4:7], v11 offset:2464
	s_waitcnt lgkmcnt(0)
	v_add_f64 v[8:9], v[0:1], v[4:5]
	v_add_f64 v[12:13], v[6:7], v[2:3]
	v_add_f64 v[14:15], v[0:1], -v[4:5]
	v_add_f64 v[0:1], v[2:3], -v[6:7]
	;; [unrolled: 18-line block ×3, first 2 shown]
	s_waitcnt vmcnt(0)
	v_fma_f64 v[2:3], v[14:15], v[26:27], v[8:9]
	v_fma_f64 v[4:5], v[12:13], v[26:27], v[0:1]
	v_fma_f64 v[6:7], -v[14:15], v[26:27], v[8:9]
	v_fma_f64 v[8:9], v[12:13], v[26:27], -v[0:1]
	v_fma_f64 v[0:1], -v[12:13], v[24:25], v[2:3]
	v_fma_f64 v[2:3], v[14:15], v[24:25], v[4:5]
	v_fma_f64 v[4:5], v[12:13], v[24:25], v[6:7]
	;; [unrolled: 1-line block ×3, first 2 shown]
	ds_write_b128 v52, v[0:3] offset:1408
	ds_write_b128 v11, v[4:7] offset:2112
	s_waitcnt lgkmcnt(0)
	s_barrier
	buffer_gl0_inv
	s_barrier
	buffer_gl0_inv
	ds_read_b128 v[24:27], v53 offset:1056
	ds_read_b128 v[20:23], v53 offset:1408
	;; [unrolled: 1-line block ×8, first 2 shown]
	ds_read_b128 v[32:35], v52
	ds_read_b128 v[36:39], v53 offset:352
	s_waitcnt lgkmcnt(0)
	s_barrier
	buffer_gl0_inv
	v_add_f64 v[88:89], v[24:25], -v[16:17]
	v_add_f64 v[58:59], v[20:21], v[12:13]
	v_add_f64 v[41:42], v[16:17], v[8:9]
	;; [unrolled: 1-line block ×5, first 2 shown]
	v_add_f64 v[64:65], v[26:27], -v[2:3]
	v_add_f64 v[62:63], v[16:17], -v[8:9]
	v_add_f64 v[70:71], v[18:19], -v[10:11]
	v_add_f64 v[80:81], v[24:25], -v[0:1]
	v_add_f64 v[60:61], v[28:29], v[4:5]
	v_add_f64 v[66:67], v[22:23], v[14:15]
	v_add_f64 v[92:93], v[0:1], -v[8:9]
	v_add_f64 v[68:69], v[30:31], v[6:7]
	v_add_f64 v[90:91], v[18:19], -v[26:27]
	v_add_f64 v[94:95], v[10:11], -v[2:3]
	;; [unrolled: 1-line block ×6, first 2 shown]
	v_add_f64 v[72:73], v[32:33], v[28:29]
	v_add_f64 v[74:75], v[34:35], v[30:31]
	;; [unrolled: 1-line block ×4, first 2 shown]
	v_fma_f64 v[41:42], v[41:42], -0.5, v[36:37]
	v_fma_f64 v[49:50], v[49:50], -0.5, v[38:39]
	;; [unrolled: 1-line block ×4, first 2 shown]
	v_add_f64 v[76:77], v[30:31], -v[6:7]
	v_add_f64 v[78:79], v[28:29], -v[20:21]
	;; [unrolled: 1-line block ×6, first 2 shown]
	v_fma_f64 v[38:39], v[58:59], -0.5, v[32:33]
	v_fma_f64 v[32:33], v[60:61], -0.5, v[32:33]
	;; [unrolled: 1-line block ×3, first 2 shown]
	v_add_f64 v[60:61], v[88:89], v[92:93]
	v_add_f64 v[84:85], v[30:31], -v[22:23]
	v_add_f64 v[96:97], v[20:21], -v[12:13]
	;; [unrolled: 1-line block ×4, first 2 shown]
	v_add_f64 v[66:67], v[90:91], v[94:95]
	v_fma_f64 v[34:35], v[68:69], -0.5, v[34:35]
	v_add_f64 v[68:69], v[104:105], v[106:107]
	v_add_f64 v[30:31], v[22:23], -v[30:31]
	v_fma_f64 v[98:99], v[64:65], s[4:5], v[41:42]
	v_fma_f64 v[100:101], v[62:63], s[4:5], v[49:50]
	;; [unrolled: 1-line block ×8, first 2 shown]
	v_add_f64 v[20:21], v[72:73], v[20:21]
	v_add_f64 v[22:23], v[74:75], v[22:23]
	;; [unrolled: 1-line block ×5, first 2 shown]
	v_fma_f64 v[72:73], v[76:77], s[4:5], v[38:39]
	v_fma_f64 v[38:39], v[76:77], s[0:1], v[38:39]
	;; [unrolled: 1-line block ×4, first 2 shown]
	v_add_f64 v[92:93], v[14:15], -v[6:7]
	v_add_f64 v[26:27], v[82:83], v[116:117]
	v_add_f64 v[36:37], v[84:85], v[36:37]
	v_fma_f64 v[32:33], v[86:87], s[4:5], v[32:33]
	v_fma_f64 v[82:83], v[96:97], s[4:5], v[34:35]
	;; [unrolled: 1-line block ×7, first 2 shown]
	v_add_f64 v[64:65], v[110:111], v[112:113]
	v_fma_f64 v[41:42], v[70:71], s[6:7], v[41:42]
	v_fma_f64 v[70:71], v[62:63], s[8:9], v[114:115]
	;; [unrolled: 1-line block ×5, first 2 shown]
	v_add_f64 v[12:13], v[20:21], v[12:13]
	v_add_f64 v[14:15], v[22:23], v[14:15]
	;; [unrolled: 1-line block ×4, first 2 shown]
	v_fma_f64 v[16:17], v[86:87], s[8:9], v[72:73]
	v_fma_f64 v[18:19], v[86:87], s[6:7], v[38:39]
	;; [unrolled: 1-line block ×4, first 2 shown]
	v_add_f64 v[30:31], v[30:31], v[92:93]
	v_fma_f64 v[32:33], v[76:77], s[6:7], v[32:33]
	v_mul_lo_u16 v78, v43, 10
	v_fma_f64 v[62:63], v[60:61], s[14:15], v[88:89]
	v_fma_f64 v[80:81], v[66:67], s[14:15], v[90:91]
	;; [unrolled: 1-line block ×11, first 2 shown]
	v_add_f64 v[4:5], v[12:13], v[4:5]
	v_add_f64 v[6:7], v[14:15], v[6:7]
	;; [unrolled: 1-line block ×4, first 2 shown]
	v_fma_f64 v[14:15], v[24:25], s[14:15], v[16:17]
	v_fma_f64 v[76:77], v[24:25], s[14:15], v[18:19]
	;; [unrolled: 1-line block ×4, first 2 shown]
	v_lshrrev_b16 v82, 11, v124
	v_fma_f64 v[32:33], v[26:27], s[14:15], v[32:33]
	v_lshrrev_b16 v83, 11, v127
	v_mul_f64 v[56:57], v[62:63], s[16:17]
	v_mul_f64 v[62:63], v[62:63], s[6:7]
	;; [unrolled: 1-line block ×8, first 2 shown]
	v_fma_f64 v[26:27], v[30:31], s[14:15], v[66:67]
	v_add_f64 v[0:1], v[4:5], v[8:9]
	v_add_f64 v[2:3], v[6:7], v[10:11]
	v_add_f64 v[4:5], v[4:5], -v[8:9]
	v_add_f64 v[6:7], v[6:7], -v[10:11]
	v_fma_f64 v[16:17], v[38:39], s[8:9], v[56:57]
	v_fma_f64 v[20:21], v[38:39], s[16:17], v[62:63]
	;; [unrolled: 1-line block ×3, first 2 shown]
	v_fma_f64 v[38:39], v[49:50], s[4:5], -v[68:69]
	v_fma_f64 v[49:50], v[80:81], s[14:15], v[70:71]
	v_fma_f64 v[54:55], v[36:37], s[14:15], v[58:59]
	;; [unrolled: 1-line block ×3, first 2 shown]
	v_fma_f64 v[58:59], v[84:85], s[0:1], -v[72:73]
	v_fma_f64 v[34:35], v[60:61], s[8:9], -v[34:35]
	;; [unrolled: 1-line block ×3, first 2 shown]
	v_lshrrev_b16 v80, 11, v125
	v_lshrrev_b16 v81, 11, v126
	v_mul_lo_u16 v60, v82, 10
	v_sub_nc_u16 v61, v48, v78
	v_cmp_gt_u32_e64 s0, 20, v48
	v_mul_lo_u16 v62, v80, 10
	v_lshlrev_b32_sdwa v84, v120, v61 dst_sel:DWORD dst_unused:UNUSED_PAD src0_sel:DWORD src1_sel:BYTE_0
	v_add_f64 v[8:9], v[14:15], v[16:17]
	v_add_f64 v[10:11], v[18:19], v[20:21]
	;; [unrolled: 1-line block ×3, first 2 shown]
	v_add_f64 v[16:17], v[14:15], -v[16:17]
	v_add_f64 v[14:15], v[26:27], v[49:50]
	v_add_f64 v[18:19], v[18:19], -v[20:21]
	v_add_f64 v[20:21], v[32:33], v[38:39]
	;; [unrolled: 2-line block ×3, first 2 shown]
	v_add_f64 v[28:29], v[76:77], v[34:35]
	v_add_f64 v[30:31], v[54:55], v[41:42]
	v_add_f64 v[26:27], v[26:27], -v[49:50]
	v_add_f64 v[32:33], v[32:33], -v[38:39]
	;; [unrolled: 1-line block ×5, first 2 shown]
	v_mul_lo_u16 v41, v81, 10
	v_mul_lo_u16 v42, v83, 10
	v_sub_nc_u16 v49, v118, v60
	v_sub_nc_u16 v50, v119, v62
	ds_write_b128 v123, v[0:3]
	ds_write_b128 v123, v[4:7] offset:80
	ds_write_b128 v123, v[8:11] offset:16
	;; [unrolled: 1-line block ×9, first 2 shown]
	v_sub_nc_u16 v41, v121, v41
	v_sub_nc_u16 v42, v122, v42
	v_lshlrev_b32_sdwa v85, v120, v49 dst_sel:DWORD dst_unused:UNUSED_PAD src0_sel:DWORD src1_sel:BYTE_0
	v_lshlrev_b32_sdwa v86, v120, v50 dst_sel:DWORD dst_unused:UNUSED_PAD src0_sel:DWORD src1_sel:BYTE_0
	s_waitcnt lgkmcnt(0)
	v_lshlrev_b32_sdwa v87, v120, v41 dst_sel:DWORD dst_unused:UNUSED_PAD src0_sel:DWORD src1_sel:BYTE_0
	v_lshlrev_b32_sdwa v88, v120, v42 dst_sel:DWORD dst_unused:UNUSED_PAD src0_sel:DWORD src1_sel:BYTE_0
	s_barrier
	buffer_gl0_inv
	s_clause 0x4
	global_load_dwordx4 v[0:3], v84, s[12:13]
	global_load_dwordx4 v[4:7], v85, s[12:13]
	;; [unrolled: 1-line block ×5, first 2 shown]
	ds_read_b128 v[20:23], v53 offset:1760
	ds_read_b128 v[24:27], v53 offset:2112
	;; [unrolled: 1-line block ×6, first 2 shown]
	ds_read_b128 v[58:61], v52
	ds_read_b128 v[62:65], v53 offset:352
	ds_read_b128 v[66:69], v53 offset:704
	;; [unrolled: 1-line block ×3, first 2 shown]
	s_waitcnt vmcnt(0) lgkmcnt(0)
	s_barrier
	buffer_gl0_inv
	v_mul_f64 v[74:75], v[30:31], v[10:11]
	v_mul_f64 v[41:42], v[22:23], v[2:3]
	;; [unrolled: 1-line block ×10, first 2 shown]
	v_fma_f64 v[20:21], v[20:21], v[0:1], -v[41:42]
	v_fma_f64 v[0:1], v[22:23], v[0:1], v[2:3]
	v_fma_f64 v[2:3], v[24:25], v[4:5], -v[49:50]
	v_fma_f64 v[4:5], v[26:27], v[4:5], v[6:7]
	;; [unrolled: 2-line block ×5, first 2 shown]
	v_and_b32_e32 v41, 0xffff, v43
	v_and_b32_e32 v42, 0xffff, v82
	;; [unrolled: 1-line block ×5, first 2 shown]
	v_mad_u32_u24 v41, 0x140, v41, 0
	v_mad_u32_u24 v42, 0x140, v42, 0
	;; [unrolled: 1-line block ×5, first 2 shown]
	v_add3_u32 v41, v41, v84, v40
	v_add3_u32 v42, v42, v85, v40
	v_add_f64 v[12:13], v[58:59], -v[20:21]
	v_add_f64 v[14:15], v[60:61], -v[0:1]
	;; [unrolled: 1-line block ×10, first 2 shown]
	v_add3_u32 v43, v43, v86, v40
	v_add3_u32 v49, v49, v87, v40
	;; [unrolled: 1-line block ×3, first 2 shown]
	v_fma_f64 v[0:1], v[58:59], 2.0, -v[12:13]
	v_fma_f64 v[2:3], v[60:61], 2.0, -v[14:15]
	;; [unrolled: 1-line block ×10, first 2 shown]
	ds_write_b128 v41, v[12:15] offset:160
	ds_write_b128 v41, v[0:3]
	ds_write_b128 v42, v[8:11]
	ds_write_b128 v42, v[16:19] offset:160
	ds_write_b128 v43, v[32:35]
	ds_write_b128 v43, v[20:23] offset:160
	;; [unrolled: 2-line block ×4, first 2 shown]
	s_waitcnt lgkmcnt(0)
	s_barrier
	buffer_gl0_inv
                                        ; implicit-def: $vgpr42_vgpr43
	s_and_saveexec_b32 s1, s0
	s_cbranch_execz .LBB0_20
; %bb.19:
	ds_read_b128 v[0:3], v52
	ds_read_b128 v[12:15], v53 offset:320
	ds_read_b128 v[8:11], v53 offset:640
	;; [unrolled: 1-line block ×10, first 2 shown]
.LBB0_20:
	s_or_b32 exec_lo, exec_lo, s1
	s_waitcnt lgkmcnt(0)
	s_barrier
	buffer_gl0_inv
	s_and_saveexec_b32 s33, s0
	s_cbranch_execz .LBB0_22
; %bb.21:
	v_subrev_nc_u32_e32 v49, 20, v48
	v_mov_b32_e32 v50, 0
	s_mov_b32 s14, 0x43842ef
	s_mov_b32 s4, 0xd9c712b6
	;; [unrolled: 1-line block ×3, first 2 shown]
	v_cndmask_b32_e64 v49, v49, v48, s0
	s_mov_b32 s8, 0x7f775887
	s_mov_b32 s18, 0xbb3a28a1
	s_mov_b32 s20, 0xf8bb580b
	s_mov_b32 s6, 0x9bcd5057
	v_mul_i32_i24_e32 v49, 10, v49
	s_mov_b32 s22, 0xfd768dbf
	s_mov_b32 s15, 0x3fefac9e
	s_mov_b32 s5, 0x3fda9628
	s_mov_b32 s17, 0xbfed1bb4
	v_lshlrev_b64 v[49:50], 4, v[49:50]
	s_mov_b32 s9, 0xbfe4f49e
	s_mov_b32 s19, 0x3fe82f19
	;; [unrolled: 1-line block ×5, first 2 shown]
	v_add_co_u32 v49, s0, s12, v49
	v_add_co_ci_u32_e64 v50, s0, s13, v50, s0
	s_mov_b32 s0, 0x640f44db
	s_mov_b32 s12, 0x8764f0ba
	;; [unrolled: 1-line block ×3, first 2 shown]
	s_clause 0x9
	global_load_dwordx4 v[54:57], v[49:50], off offset:160
	global_load_dwordx4 v[58:61], v[49:50], off offset:304
	;; [unrolled: 1-line block ×10, first 2 shown]
	s_mov_b32 s13, 0x3feaeb8c
	s_mov_b32 s27, 0xbfefac9e
	;; [unrolled: 1-line block ×11, first 2 shown]
	s_waitcnt vmcnt(9)
	v_mul_f64 v[49:50], v[12:13], v[56:57]
	s_waitcnt vmcnt(8)
	v_mul_f64 v[94:95], v[40:41], v[60:61]
	v_mul_f64 v[56:57], v[14:15], v[56:57]
	;; [unrolled: 1-line block ×3, first 2 shown]
	s_waitcnt vmcnt(7)
	v_mul_f64 v[96:97], v[20:21], v[64:65]
	v_mul_f64 v[64:65], v[22:23], v[64:65]
	s_waitcnt vmcnt(5)
	v_mul_f64 v[100:101], v[32:33], v[72:73]
	v_mul_f64 v[72:73], v[34:35], v[72:73]
	s_waitcnt vmcnt(1)
	v_mul_f64 v[108:109], v[8:9], v[88:89]
	s_waitcnt vmcnt(0)
	v_mul_f64 v[110:111], v[4:5], v[92:93]
	v_mul_f64 v[88:89], v[10:11], v[88:89]
	v_mul_f64 v[92:93], v[6:7], v[92:93]
	v_mul_f64 v[102:103], v[28:29], v[76:77]
	v_mul_f64 v[76:77], v[30:31], v[76:77]
	v_mul_f64 v[104:105], v[16:17], v[80:81]
	v_mul_f64 v[80:81], v[18:19], v[80:81]
	v_mul_f64 v[106:107], v[24:25], v[84:85]
	v_mul_f64 v[84:85], v[26:27], v[84:85]
	v_mul_f64 v[98:99], v[36:37], v[68:69]
	v_mul_f64 v[68:69], v[38:39], v[68:69]
	v_fma_f64 v[112:113], v[14:15], v[54:55], v[49:50]
	v_fma_f64 v[14:15], v[42:43], v[58:59], v[94:95]
	v_fma_f64 v[54:55], v[12:13], v[54:55], -v[56:57]
	v_fma_f64 v[12:13], v[40:41], v[58:59], -v[60:61]
	v_fma_f64 v[42:43], v[22:23], v[62:63], v[96:97]
	v_fma_f64 v[49:50], v[20:21], v[62:63], -v[64:65]
	v_fma_f64 v[34:35], v[34:35], v[70:71], v[100:101]
	;; [unrolled: 2-line block ×3, first 2 shown]
	v_fma_f64 v[6:7], v[6:7], v[90:91], v[110:111]
	v_fma_f64 v[8:9], v[8:9], v[86:87], -v[88:89]
	v_fma_f64 v[4:5], v[4:5], v[90:91], -v[92:93]
	v_fma_f64 v[20:21], v[30:31], v[74:75], v[102:103]
	v_fma_f64 v[22:23], v[28:29], v[74:75], -v[76:77]
	v_fma_f64 v[18:19], v[18:19], v[78:79], v[104:105]
	;; [unrolled: 2-line block ×4, first 2 shown]
	v_fma_f64 v[36:37], v[36:37], v[66:67], -v[68:69]
	v_add_f64 v[60:61], v[2:3], v[112:113]
	v_add_f64 v[28:29], v[112:113], v[14:15]
	v_add_f64 v[30:31], v[112:113], -v[14:15]
	v_add_f64 v[40:41], v[54:55], -v[12:13]
	v_add_f64 v[56:57], v[54:55], v[12:13]
	v_add_f64 v[54:55], v[0:1], v[54:55]
	;; [unrolled: 1-line block ×3, first 2 shown]
	v_add_f64 v[84:85], v[10:11], -v[6:7]
	v_add_f64 v[74:75], v[8:9], -v[4:5]
	v_add_f64 v[86:87], v[8:9], v[4:5]
	v_add_f64 v[64:65], v[34:35], v[20:21]
	v_add_f64 v[80:81], v[34:35], -v[20:21]
	v_add_f64 v[66:67], v[32:33], -v[22:23]
	v_add_f64 v[68:69], v[18:19], v[26:27]
	v_add_f64 v[88:89], v[18:19], -v[26:27]
	v_add_f64 v[58:59], v[42:43], v[38:39]
	v_add_f64 v[76:77], v[42:43], -v[38:39]
	v_add_f64 v[62:63], v[49:50], -v[36:37]
	;; [unrolled: 1-line block ×3, first 2 shown]
	v_add_f64 v[10:11], v[60:61], v[10:11]
	v_mul_f64 v[92:93], v[28:29], s[6:7]
	v_mul_f64 v[94:95], v[30:31], s[34:35]
	;; [unrolled: 1-line block ×4, first 2 shown]
	v_add_f64 v[8:9], v[54:55], v[8:9]
	v_mul_f64 v[100:101], v[28:29], s[0:1]
	v_mul_f64 v[102:103], v[30:31], s[26:27]
	;; [unrolled: 1-line block ×6, first 2 shown]
	v_add_f64 v[78:79], v[49:50], v[36:37]
	v_add_f64 v[82:83], v[32:33], v[22:23]
	;; [unrolled: 1-line block ×3, first 2 shown]
	v_mul_f64 v[116:117], v[64:65], s[4:5]
	v_mul_f64 v[118:119], v[64:65], s[6:7]
	;; [unrolled: 1-line block ×7, first 2 shown]
	v_add_f64 v[10:11], v[10:11], v[18:19]
	v_mul_f64 v[58:59], v[58:59], s[6:7]
	v_mul_f64 v[122:123], v[64:65], s[0:1]
	;; [unrolled: 1-line block ×4, first 2 shown]
	v_add_f64 v[8:9], v[8:9], v[16:17]
	v_mul_f64 v[126:127], v[68:69], s[12:13]
	v_mul_f64 v[128:129], v[68:69], s[4:5]
	;; [unrolled: 1-line block ×16, first 2 shown]
	v_add_f64 v[10:11], v[10:11], v[34:35]
	v_mul_f64 v[148:149], v[80:81], s[20:21]
	v_mul_f64 v[150:151], v[80:81], s[14:15]
	;; [unrolled: 1-line block ×4, first 2 shown]
	v_add_f64 v[8:9], v[8:9], v[32:33]
	v_mul_f64 v[154:155], v[84:85], s[14:15]
	v_mul_f64 v[156:157], v[84:85], s[22:23]
	;; [unrolled: 1-line block ×9, first 2 shown]
	v_fma_f64 v[168:169], v[40:41], s[22:23], v[92:93]
	v_fma_f64 v[170:171], v[56:57], s[6:7], v[94:95]
	;; [unrolled: 1-line block ×3, first 2 shown]
	v_fma_f64 v[94:95], v[56:57], s[6:7], -v[94:95]
	v_fma_f64 v[172:173], v[40:41], s[18:19], v[96:97]
	v_fma_f64 v[174:175], v[56:57], s[8:9], v[98:99]
	;; [unrolled: 1-line block ×3, first 2 shown]
	v_fma_f64 v[98:99], v[56:57], s[8:9], -v[98:99]
	v_fma_f64 v[176:177], v[40:41], s[14:15], v[100:101]
	v_fma_f64 v[100:101], v[40:41], s[26:27], v[100:101]
	;; [unrolled: 1-line block ×7, first 2 shown]
	v_fma_f64 v[30:31], v[56:57], s[12:13], -v[30:31]
	v_fma_f64 v[182:183], v[56:57], s[4:5], v[106:107]
	v_fma_f64 v[106:107], v[56:57], s[4:5], -v[106:107]
	v_fma_f64 v[178:179], v[56:57], s[0:1], v[102:103]
	v_fma_f64 v[102:103], v[56:57], s[0:1], -v[102:103]
	v_add_f64 v[10:11], v[10:11], v[42:43]
	v_add_f64 v[8:9], v[8:9], v[49:50]
	v_fma_f64 v[56:57], v[62:63], s[14:15], v[108:109]
	v_fma_f64 v[108:109], v[62:63], s[26:27], v[108:109]
	;; [unrolled: 1-line block ×41, first 2 shown]
	v_fma_f64 v[72:73], v[78:79], s[0:1], -v[140:141]
	v_fma_f64 v[74:75], v[78:79], s[4:5], v[142:143]
	v_fma_f64 v[140:141], v[78:79], s[4:5], -v[142:143]
	v_fma_f64 v[142:143], v[78:79], s[8:9], v[144:145]
	;; [unrolled: 2-line block ×19, first 2 shown]
	v_fma_f64 v[42:43], v[90:91], s[0:1], -v[88:89]
	v_add_f64 v[49:50], v[2:3], v[168:169]
	v_add_f64 v[90:91], v[2:3], v[92:93]
	v_add_f64 v[92:93], v[0:1], v[94:95]
	v_add_f64 v[168:169], v[0:1], v[174:175]
	v_add_f64 v[98:99], v[0:1], v[98:99]
	v_add_f64 v[28:29], v[2:3], v[28:29]
	v_add_f64 v[30:31], v[0:1], v[30:31]
	v_add_f64 v[88:89], v[0:1], v[170:171]
	v_add_f64 v[94:95], v[2:3], v[172:173]
	v_add_f64 v[96:97], v[2:3], v[96:97]
	v_add_f64 v[104:105], v[2:3], v[104:105]
	v_add_f64 v[106:107], v[0:1], v[106:107]
	v_add_f64 v[100:101], v[2:3], v[100:101]
	v_add_f64 v[102:103], v[0:1], v[102:103]
	v_add_f64 v[170:171], v[2:3], v[176:177]
	v_add_f64 v[172:173], v[0:1], v[178:179]
	v_add_f64 v[174:175], v[2:3], v[180:181]
	v_add_f64 v[176:177], v[0:1], v[182:183]
	v_add_f64 v[10:11], v[10:11], v[38:39]
	v_add_f64 v[8:9], v[8:9], v[36:37]
	v_add_f64 v[2:3], v[2:3], v[184:185]
	v_add_f64 v[0:1], v[0:1], v[40:41]
	v_add_f64 v[36:37], v[70:71], v[49:50]
	v_add_f64 v[38:39], v[132:133], v[90:91]
	v_add_f64 v[40:41], v[80:81], v[92:93]
	v_add_f64 v[70:71], v[82:83], v[168:169]
	v_add_f64 v[82:83], v[152:153], v[98:99]
	v_add_f64 v[16:17], v[16:17], v[28:29]
	v_add_f64 v[28:29], v[84:85], v[30:31]
	v_add_f64 v[34:35], v[34:35], v[88:89]
	v_add_f64 v[49:50], v[210:211], v[94:95]
	v_add_f64 v[80:81], v[134:135], v[96:97]
	v_add_f64 v[90:91], v[138:139], v[104:105]
	v_add_f64 v[30:31], v[158:159], v[106:107]
	v_add_f64 v[88:89], v[136:137], v[100:101]
	v_add_f64 v[84:85], v[156:157], v[102:103]
	v_add_f64 v[92:93], v[212:213], v[170:171]
	v_add_f64 v[94:95], v[154:155], v[172:173]
	v_add_f64 v[96:97], v[214:215], v[174:175]
	v_add_f64 v[98:99], v[230:231], v[176:177]
	v_add_f64 v[10:11], v[10:11], v[20:21]
	v_add_f64 v[8:9], v[8:9], v[22:23]
	v_add_f64 v[2:3], v[216:217], v[2:3]
	v_add_f64 v[0:1], v[232:233], v[0:1]
	v_add_f64 v[20:21], v[66:67], v[36:37]
	v_add_f64 v[36:37], v[160:161], v[40:41]
	v_add_f64 v[40:41], v[234:235], v[70:71]
	v_add_f64 v[66:67], v[162:163], v[82:83]
	v_add_f64 v[16:17], v[68:69], v[16:17]
	v_add_f64 v[28:29], v[42:43], v[28:29]
	v_add_f64 v[22:23], v[86:87], v[34:35]
	v_add_f64 v[34:35], v[124:125], v[38:39]
	v_add_f64 v[38:39], v[202:203], v[49:50]
	v_add_f64 v[49:50], v[126:127], v[80:81]
	v_add_f64 v[80:81], v[130:131], v[90:91]
	v_add_f64 v[30:31], v[166:167], v[30:31]
	v_add_f64 v[70:71], v[128:129], v[88:89]
	v_add_f64 v[42:43], v[164:165], v[84:85]
	v_add_f64 v[68:69], v[204:205], v[92:93]
	v_add_f64 v[82:83], v[236:237], v[94:95]
	v_add_f64 v[84:85], v[206:207], v[96:97]
	v_add_f64 v[86:87], v[238:239], v[98:99]
	v_add_f64 v[10:11], v[10:11], v[26:27]
	v_add_f64 v[8:9], v[8:9], v[24:25]
	v_add_f64 v[2:3], v[208:209], v[2:3]
	v_add_f64 v[0:1], v[240:241], v[0:1]
	v_add_f64 v[20:21], v[62:63], v[20:21]
	v_add_f64 v[26:27], v[54:55], v[36:37]
	v_add_f64 v[36:37], v[222:223], v[40:41]
	v_add_f64 v[40:41], v[60:61], v[66:67]
	v_add_f64 v[60:61], v[64:65], v[16:17]
	v_add_f64 v[28:29], v[32:33], v[28:29]
	v_add_f64 v[22:23], v[78:79], v[22:23]
	v_add_f64 v[24:25], v[116:117], v[34:35]
	v_add_f64 v[34:35], v[194:195], v[38:39]
	v_add_f64 v[38:39], v[118:119], v[49:50]
	v_add_f64 v[54:55], v[122:123], v[80:81]
	v_add_f64 v[32:33], v[150:151], v[30:31]
	v_add_f64 v[49:50], v[120:121], v[70:71]
	v_add_f64 v[42:43], v[148:149], v[42:43]
	v_add_f64 v[62:63], v[196:197], v[68:69]
	v_add_f64 v[64:65], v[224:225], v[82:83]
	v_add_f64 v[66:67], v[198:199], v[84:85]
	v_add_f64 v[68:69], v[226:227], v[86:87]
	v_add_f64 v[78:79], v[10:11], v[6:7]
	v_add_f64 v[80:81], v[8:9], v[4:5]
	v_add_f64 v[70:71], v[200:201], v[2:3]
	v_add_f64 v[82:83], v[228:229], v[0:1]
	v_add_f64 v[2:3], v[56:57], v[20:21]
	v_add_f64 v[4:5], v[72:73], v[26:27]
	v_add_f64 v[8:9], v[74:75], v[36:37]
	v_add_f64 v[16:17], v[140:141], v[40:41]
	v_add_f64 v[30:31], v[58:59], v[60:61]
	v_add_f64 v[28:29], v[76:77], v[28:29]
	v_add_f64 v[0:1], v[18:19], v[22:23]
	v_add_f64 v[6:7], v[108:109], v[24:25]
	v_add_f64 v[10:11], v[186:187], v[34:35]
	v_add_f64 v[18:19], v[110:111], v[38:39]
	v_add_f64 v[26:27], v[114:115], v[54:55]
	v_add_f64 v[24:25], v[146:147], v[32:33]
	v_add_f64 v[22:23], v[112:113], v[49:50]
	v_add_f64 v[20:21], v[144:145], v[42:43]
	v_add_f64 v[34:35], v[188:189], v[62:63]
	v_add_f64 v[32:33], v[142:143], v[64:65]
	v_add_f64 v[38:39], v[190:191], v[66:67]
	v_add_f64 v[36:37], v[218:219], v[68:69]
	v_add_f64 v[14:15], v[78:79], v[14:15]
	v_add_f64 v[12:13], v[80:81], v[12:13]
	v_add_f64 v[42:43], v[192:193], v[70:71]
	v_add_f64 v[40:41], v[220:221], v[82:83]
	ds_write_b128 v53, v[28:31] offset:320
	ds_write_b128 v53, v[24:27] offset:640
	;; [unrolled: 1-line block ×9, first 2 shown]
	ds_write_b128 v52, v[12:15]
	ds_write_b128 v53, v[40:43] offset:3200
.LBB0_22:
	s_or_b32 exec_lo, exec_lo, s33
	s_waitcnt lgkmcnt(0)
	s_barrier
	buffer_gl0_inv
	s_and_saveexec_b32 s0, vcc_lo
	s_cbranch_execz .LBB0_24
; %bb.23:
	v_mul_lo_u32 v2, s3, v46
	v_mul_lo_u32 v3, s2, v47
	v_mad_u64_u32 v[0:1], null, s2, v46, 0
	v_mov_b32_e32 v49, 0
	v_lshl_add_u32 v30, v48, 4, v51
	v_lshlrev_b64 v[12:13], 4, v[44:45]
	v_add_nc_u32_e32 v14, 22, v48
	v_add_nc_u32_e32 v16, 44, v48
	v_mov_b32_e32 v15, v49
	v_add3_u32 v1, v1, v3, v2
	v_lshlrev_b64 v[18:19], 4, v[48:49]
	v_mov_b32_e32 v17, v49
	v_add_nc_u32_e32 v28, 0x58, v48
	v_mov_b32_e32 v29, v49
	v_lshlrev_b64 v[8:9], 4, v[0:1]
	ds_read_b128 v[0:3], v30
	ds_read_b128 v[4:7], v30 offset:352
	v_add_co_u32 v20, vcc_lo, s10, v8
	v_add_co_ci_u32_e32 v21, vcc_lo, s11, v9, vcc_lo
	ds_read_b128 v[8:11], v30 offset:704
	v_add_co_u32 v31, vcc_lo, v20, v12
	v_add_co_ci_u32_e32 v32, vcc_lo, v21, v13, vcc_lo
	v_lshlrev_b64 v[12:13], 4, v[14:15]
	v_add_co_u32 v20, vcc_lo, v31, v18
	v_lshlrev_b64 v[14:15], 4, v[16:17]
	v_add_nc_u32_e32 v16, 0x42, v48
	v_add_co_ci_u32_e32 v21, vcc_lo, v32, v19, vcc_lo
	v_add_co_u32 v22, vcc_lo, v31, v12
	v_add_co_ci_u32_e32 v23, vcc_lo, v32, v13, vcc_lo
	v_lshlrev_b64 v[26:27], 4, v[16:17]
	ds_read_b128 v[16:19], v30 offset:1408
	v_add_co_u32 v24, vcc_lo, v31, v14
	v_add_co_ci_u32_e32 v25, vcc_lo, v32, v15, vcc_lo
	ds_read_b128 v[12:15], v30 offset:1056
	s_waitcnt lgkmcnt(4)
	global_store_dwordx4 v[20:21], v[0:3], off
	s_waitcnt lgkmcnt(3)
	global_store_dwordx4 v[22:23], v[4:7], off
	;; [unrolled: 2-line block ×3, first 2 shown]
	v_lshlrev_b64 v[0:1], 4, v[28:29]
	v_add_co_u32 v2, vcc_lo, v31, v26
	v_add_co_ci_u32_e32 v3, vcc_lo, v32, v27, vcc_lo
	v_add_nc_u32_e32 v4, 0x6e, v48
	v_mov_b32_e32 v5, v49
	v_add_co_u32 v6, vcc_lo, v31, v0
	v_add_co_ci_u32_e32 v7, vcc_lo, v32, v1, vcc_lo
	v_add_nc_u32_e32 v8, 0x84, v48
	v_mov_b32_e32 v9, v49
	v_lshlrev_b64 v[4:5], 4, v[4:5]
	s_waitcnt lgkmcnt(1)
	global_store_dwordx4 v[6:7], v[16:19], off
	v_add_nc_u32_e32 v24, 0xb0, v48
	v_mov_b32_e32 v25, v49
	v_lshlrev_b64 v[6:7], 4, v[8:9]
	s_waitcnt lgkmcnt(0)
	global_store_dwordx4 v[2:3], v[12:15], off
	v_add_co_u32 v20, vcc_lo, v31, v4
	v_add_nc_u32_e32 v12, 0x9a, v48
	v_mov_b32_e32 v13, v49
	v_add_co_ci_u32_e32 v21, vcc_lo, v32, v5, vcc_lo
	v_add_co_u32 v22, vcc_lo, v31, v6
	ds_read_b128 v[0:3], v30 offset:1760
	v_add_co_ci_u32_e32 v23, vcc_lo, v32, v7, vcc_lo
	ds_read_b128 v[4:7], v30 offset:2112
	ds_read_b128 v[8:11], v30 offset:2464
	v_lshlrev_b64 v[26:27], 4, v[12:13]
	ds_read_b128 v[12:15], v30 offset:2816
	ds_read_b128 v[16:19], v30 offset:3168
	v_add_nc_u32_e32 v48, 0xc6, v48
	v_lshlrev_b64 v[24:25], 4, v[24:25]
	v_add_co_u32 v26, vcc_lo, v31, v26
	v_lshlrev_b64 v[28:29], 4, v[48:49]
	v_add_co_ci_u32_e32 v27, vcc_lo, v32, v27, vcc_lo
	v_add_co_u32 v24, vcc_lo, v31, v24
	v_add_co_ci_u32_e32 v25, vcc_lo, v32, v25, vcc_lo
	v_add_co_u32 v28, vcc_lo, v31, v28
	v_add_co_ci_u32_e32 v29, vcc_lo, v32, v29, vcc_lo
	s_waitcnt lgkmcnt(4)
	global_store_dwordx4 v[20:21], v[0:3], off
	s_waitcnt lgkmcnt(3)
	global_store_dwordx4 v[22:23], v[4:7], off
	;; [unrolled: 2-line block ×5, first 2 shown]
.LBB0_24:
	s_endpgm
	.section	.rodata,"a",@progbits
	.p2align	6, 0x0
	.amdhsa_kernel fft_rtc_fwd_len220_factors_10_2_11_wgs_110_tpt_22_dp_op_CI_CI_unitstride_sbrr_C2R_dirReg
		.amdhsa_group_segment_fixed_size 0
		.amdhsa_private_segment_fixed_size 0
		.amdhsa_kernarg_size 104
		.amdhsa_user_sgpr_count 6
		.amdhsa_user_sgpr_private_segment_buffer 1
		.amdhsa_user_sgpr_dispatch_ptr 0
		.amdhsa_user_sgpr_queue_ptr 0
		.amdhsa_user_sgpr_kernarg_segment_ptr 1
		.amdhsa_user_sgpr_dispatch_id 0
		.amdhsa_user_sgpr_flat_scratch_init 0
		.amdhsa_user_sgpr_private_segment_size 0
		.amdhsa_wavefront_size32 1
		.amdhsa_uses_dynamic_stack 0
		.amdhsa_system_sgpr_private_segment_wavefront_offset 0
		.amdhsa_system_sgpr_workgroup_id_x 1
		.amdhsa_system_sgpr_workgroup_id_y 0
		.amdhsa_system_sgpr_workgroup_id_z 0
		.amdhsa_system_sgpr_workgroup_info 0
		.amdhsa_system_vgpr_workitem_id 0
		.amdhsa_next_free_vgpr 242
		.amdhsa_next_free_sgpr 36
		.amdhsa_reserve_vcc 1
		.amdhsa_reserve_flat_scratch 0
		.amdhsa_float_round_mode_32 0
		.amdhsa_float_round_mode_16_64 0
		.amdhsa_float_denorm_mode_32 3
		.amdhsa_float_denorm_mode_16_64 3
		.amdhsa_dx10_clamp 1
		.amdhsa_ieee_mode 1
		.amdhsa_fp16_overflow 0
		.amdhsa_workgroup_processor_mode 1
		.amdhsa_memory_ordered 1
		.amdhsa_forward_progress 0
		.amdhsa_shared_vgpr_count 0
		.amdhsa_exception_fp_ieee_invalid_op 0
		.amdhsa_exception_fp_denorm_src 0
		.amdhsa_exception_fp_ieee_div_zero 0
		.amdhsa_exception_fp_ieee_overflow 0
		.amdhsa_exception_fp_ieee_underflow 0
		.amdhsa_exception_fp_ieee_inexact 0
		.amdhsa_exception_int_div_zero 0
	.end_amdhsa_kernel
	.text
.Lfunc_end0:
	.size	fft_rtc_fwd_len220_factors_10_2_11_wgs_110_tpt_22_dp_op_CI_CI_unitstride_sbrr_C2R_dirReg, .Lfunc_end0-fft_rtc_fwd_len220_factors_10_2_11_wgs_110_tpt_22_dp_op_CI_CI_unitstride_sbrr_C2R_dirReg
                                        ; -- End function
	.section	.AMDGPU.csdata,"",@progbits
; Kernel info:
; codeLenInByte = 8968
; NumSgprs: 38
; NumVgprs: 242
; ScratchSize: 0
; MemoryBound: 0
; FloatMode: 240
; IeeeMode: 1
; LDSByteSize: 0 bytes/workgroup (compile time only)
; SGPRBlocks: 4
; VGPRBlocks: 30
; NumSGPRsForWavesPerEU: 38
; NumVGPRsForWavesPerEU: 242
; Occupancy: 4
; WaveLimiterHint : 1
; COMPUTE_PGM_RSRC2:SCRATCH_EN: 0
; COMPUTE_PGM_RSRC2:USER_SGPR: 6
; COMPUTE_PGM_RSRC2:TRAP_HANDLER: 0
; COMPUTE_PGM_RSRC2:TGID_X_EN: 1
; COMPUTE_PGM_RSRC2:TGID_Y_EN: 0
; COMPUTE_PGM_RSRC2:TGID_Z_EN: 0
; COMPUTE_PGM_RSRC2:TIDIG_COMP_CNT: 0
	.text
	.p2alignl 6, 3214868480
	.fill 48, 4, 3214868480
	.type	__hip_cuid_9095fcf4cc9e5131,@object ; @__hip_cuid_9095fcf4cc9e5131
	.section	.bss,"aw",@nobits
	.globl	__hip_cuid_9095fcf4cc9e5131
__hip_cuid_9095fcf4cc9e5131:
	.byte	0                               ; 0x0
	.size	__hip_cuid_9095fcf4cc9e5131, 1

	.ident	"AMD clang version 19.0.0git (https://github.com/RadeonOpenCompute/llvm-project roc-6.4.0 25133 c7fe45cf4b819c5991fe208aaa96edf142730f1d)"
	.section	".note.GNU-stack","",@progbits
	.addrsig
	.addrsig_sym __hip_cuid_9095fcf4cc9e5131
	.amdgpu_metadata
---
amdhsa.kernels:
  - .args:
      - .actual_access:  read_only
        .address_space:  global
        .offset:         0
        .size:           8
        .value_kind:     global_buffer
      - .offset:         8
        .size:           8
        .value_kind:     by_value
      - .actual_access:  read_only
        .address_space:  global
        .offset:         16
        .size:           8
        .value_kind:     global_buffer
      - .actual_access:  read_only
        .address_space:  global
        .offset:         24
        .size:           8
        .value_kind:     global_buffer
      - .actual_access:  read_only
        .address_space:  global
        .offset:         32
        .size:           8
        .value_kind:     global_buffer
      - .offset:         40
        .size:           8
        .value_kind:     by_value
      - .actual_access:  read_only
        .address_space:  global
        .offset:         48
        .size:           8
        .value_kind:     global_buffer
      - .actual_access:  read_only
        .address_space:  global
        .offset:         56
        .size:           8
        .value_kind:     global_buffer
      - .offset:         64
        .size:           4
        .value_kind:     by_value
      - .actual_access:  read_only
        .address_space:  global
        .offset:         72
        .size:           8
        .value_kind:     global_buffer
      - .actual_access:  read_only
        .address_space:  global
        .offset:         80
        .size:           8
        .value_kind:     global_buffer
      - .actual_access:  read_only
        .address_space:  global
        .offset:         88
        .size:           8
        .value_kind:     global_buffer
      - .actual_access:  write_only
        .address_space:  global
        .offset:         96
        .size:           8
        .value_kind:     global_buffer
    .group_segment_fixed_size: 0
    .kernarg_segment_align: 8
    .kernarg_segment_size: 104
    .language:       OpenCL C
    .language_version:
      - 2
      - 0
    .max_flat_workgroup_size: 110
    .name:           fft_rtc_fwd_len220_factors_10_2_11_wgs_110_tpt_22_dp_op_CI_CI_unitstride_sbrr_C2R_dirReg
    .private_segment_fixed_size: 0
    .sgpr_count:     38
    .sgpr_spill_count: 0
    .symbol:         fft_rtc_fwd_len220_factors_10_2_11_wgs_110_tpt_22_dp_op_CI_CI_unitstride_sbrr_C2R_dirReg.kd
    .uniform_work_group_size: 1
    .uses_dynamic_stack: false
    .vgpr_count:     242
    .vgpr_spill_count: 0
    .wavefront_size: 32
    .workgroup_processor_mode: 1
amdhsa.target:   amdgcn-amd-amdhsa--gfx1030
amdhsa.version:
  - 1
  - 2
...

	.end_amdgpu_metadata
